;; amdgpu-corpus repo=ROCm/aiter kind=harvested arch=n/a opt=n/a

/root/src/amdgpu-assembly/repos/ROCm__aiter/hsa/gfx950/fmha_v3_bwd/bwd_hd192_dq_convert_bf16.co:	file format elf64-amdgpu

Disassembly of section .text:

0000000000002100 <_ZN5aiter30fmha_bwd_hd192_dq_convert_bf16E>:
	s_and_b32 s1, s1, 0xffff                                   // 000000002100: 8601FF01 0000FFFF
	s_load_dwordx2 s[12:13], s[0:1], 0x0                       // 000000002108: C0060300 00000000
	s_load_dwordx2 s[16:17], s[0:1], 0x10                      // 000000002110: C0060400 00000010
	s_load_dword s6, s[0:1], 0x20                              // 000000002118: C0020180 00000020
	s_load_dword s8, s[0:1], 0x40                              // 000000002120: C0020200 00000040
	s_load_dword s9, s[0:1], 0x50                              // 000000002128: C0020240 00000050
	s_load_dword s11, s[0:1], 0x70                             // 000000002130: C00202C0 00000070
	s_load_dword s34, s[0:1], 0x90                             // 000000002138: C0020880 00000090
	s_load_dword s7, s[0:1], 0x30                              // 000000002140: C00201C0 00000030
	s_load_dword s10, s[0:1], 0x60                             // 000000002148: C0020280 00000060
	s_load_dword s35, s[0:1], 0x80                             // 000000002150: C00208C0 00000080
	v_lshrrev_b32_e32 v1, 10, v0                               // 000000002158: 2002008A
	v_lshrrev_b32_e32 v2, 10, v1                               // 00000000215C: 2004028A
	v_and_b32_e32 v2, 0x3ff, v2                                // 000000002160: 260404FF 000003FF
	v_and_b32_e32 v1, 0x3ff, v1                                // 000000002168: 260202FF 000003FF
	v_and_b32_e32 v0, 0x3ff, v0                                // 000000002170: 260000FF 000003FF
	v_lshrrev_b32_e32 v3, 6, v0                                // 000000002178: 20060086
	v_and_b32_e32 v0, 63, v0                                   // 00000000217C: 260000BF
	s_mov_b32 s2, s2                                           // 000000002180: BE820002
	s_mov_b32 s3, s3                                           // 000000002184: BE830003
	s_mov_b32 s4, s4                                           // 000000002188: BE840004
	v_readfirstlane_b32 s24, v3                                // 00000000218C: 7E300503
	s_waitcnt lgkmcnt(0)                                       // 000000002190: BF8CC07F
	s_mov_b32 s15, 0x20000                                     // 000000002194: BE8F00FF 00020000
	s_mov_b32 s19, 0x20000                                     // 00000000219C: BE9300FF 00020000
	s_and_b32 s13, s13, 0xffff                                 // 0000000021A4: 860DFF0D 0000FFFF
	s_and_b32 s17, s17, 0xffff                                 // 0000000021AC: 8611FF11 0000FFFF
	s_or_b32 s13, s13, 0x40000                                 // 0000000021B4: 870DFF0D 00040000
	s_or_b32 s17, s17, 0x40000                                 // 0000000021BC: 8711FF11 00040000
	v_mov_b32_e32 v29, 0                                       // 0000000021C4: 7E3A0280
	s_mov_b32 s20, s12                                         // 0000000021C8: BE94000C
	s_mov_b32 s21, s13                                         // 0000000021CC: BE95000D
	s_mov_b32 s22, s16                                         // 0000000021D0: BE960010
	s_mov_b32 s23, s17                                         // 0000000021D4: BE970011
	s_mul_i32 s25, s8, 64                                      // 0000000021D8: 9219C008
	s_mul_i32 s25, s2, s25                                     // 0000000021DC: 92191902
	s_mul_i32 s26, s3, s6                                      // 0000000021E0: 921A0603
	s_mul_hi_u32 s29, s3, s6                                   // 0000000021E4: 961D0603
	s_add_u32 s28, s25, s26                                    // 0000000021E8: 801C1A19
	s_addc_u32 s29, s29, 0                                     // 0000000021EC: 821D801D
	s_mul_i32 s26, s4, s7                                      // 0000000021F0: 921A0704
	s_mul_hi_u32 s27, s4, s7                                   // 0000000021F4: 961B0704
	s_add_u32 s28, s28, s26                                    // 0000000021F8: 801C1A1C
	s_addc_u32 s29, s29, s27                                   // 0000000021FC: 821D1B1D
	s_mul_i32 s26, s35, s8                                     // 000000002200: 921A0823
	s_sub_i32 s26, s26, s25                                    // 000000002204: 819A191A
	s_mov_b32 s14, s26                                         // 000000002208: BE8E001A
	s_add_u32 s12, s28, s20                                    // 00000000220C: 800C141C
	s_addc_u32 s13, s29, s21                                   // 000000002210: 820D151D
	s_mul_i32 s25, s11, 64                                     // 000000002214: 9219C00B
	s_mul_i32 s25, s2, s25                                     // 000000002218: 92191902
	s_mul_i32 s26, s3, s9                                      // 00000000221C: 921A0903
	s_mul_hi_u32 s28, s3, s9                                   // 000000002220: 961C0903
	s_add_u32 s29, s25, s26                                    // 000000002224: 801D1A19
	s_addc_u32 s28, s28, 0                                     // 000000002228: 821C801C
	s_mul_i32 s26, s4, s10                                     // 00000000222C: 921A0A04
	s_mul_hi_u32 s27, s4, s10                                  // 000000002230: 961B0A04
	s_add_u32 s29, s29, s26                                    // 000000002234: 801D1A1D
	s_addc_u32 s28, s28, s27                                   // 000000002238: 821C1B1C
	s_mul_i32 s26, s35, s11                                    // 00000000223C: 921A0B23
	s_sub_i32 s26, s26, s25                                    // 000000002240: 819A191A
	s_mov_b32 s18, s26                                         // 000000002244: BE92001A
	s_add_u32 s16, s29, s22                                    // 000000002248: 8010161D
	s_addc_u32 s17, s28, s23                                   // 00000000224C: 8211171C
	v_readfirstlane_b32 s24, v3                                // 000000002250: 7E300503
	v_lshrrev_b32_e32 v26, 4, v0                               // 000000002254: 20340084
	v_mul_i32_i24_e32 v26, s8, v26                             // 000000002258: 0C343408
	v_and_b32_e32 v27, 15, v0                                  // 00000000225C: 2636008F
	v_mul_i32_i24_e32 v27, 16, v27                             // 000000002260: 0C363690
	v_add_u32_e32 v27, v26, v27                                // 000000002264: 6836371A
	v_mov_b32_e32 v4, v27                                      // 000000002268: 7E08031B
	s_mul_i32 s25, 16, s8                                      // 00000000226C: 92190890
	s_mul_i32 s25, s24, s25                                    // 000000002270: 92191918
	v_add_u32_e32 v4, s25, v4                                  // 000000002274: 68080819
	v_mov_b32_e32 v6, 0                                        // 000000002278: 7E0C0280
	v_lshrrev_b32_e32 v26, 5, v0                               // 00000000227C: 20340085
	v_lshlrev_b32_e32 v26, 1, v26                              // 000000002280: 24343481
	v_mul_i32_i24_e32 v26, s11, v26                            // 000000002284: 0C34340B
	v_and_b32_e32 v27, 15, v0                                  // 000000002288: 2636008F
	v_lshlrev_b32_e32 v27, 3, v27                              // 00000000228C: 24363683
	v_and_b32_e32 v28, 31, v0                                  // 000000002290: 2638009F
	v_lshrrev_b32_e32 v28, 4, v28                              // 000000002294: 20383884
	v_lshlrev_b32_e32 v28, 2, v28                              // 000000002298: 24383882
	v_add_u32_e32 v6, v26, v6                                  // 00000000229C: 680C0D1A
	v_add_u32_e32 v6, v27, v6                                  // 0000000022A0: 680C0D1B
	v_add_u32_e32 v6, v28, v6                                  // 0000000022A4: 680C0D1C
	s_mul_i32 s25, 16, s11                                     // 0000000022A8: 92190B90
	s_mul_i32 s25, s24, s25                                    // 0000000022AC: 92191918
	v_add_u32_e32 v6, s25, v6                                  // 0000000022B0: 680C0C19
	v_and_b32_e32 v26, 15, v0                                  // 0000000022B4: 2634008F
	v_lshlrev_b32_e32 v26, 2, v26                              // 0000000022B8: 24343482
	s_sub_i32 s25, s34, 0x80                                   // 0000000022BC: 8199FF22 00000080
	v_cmp_lt_u32_e64 s[30:31], v26, s25                        // 0000000022C4: D0C9001E 0000331A
	v_and_b32_e32 v26, 15, v0                                  // 0000000022CC: 2634008F
	v_lshrrev_b32_e32 v26, 1, v26                              // 0000000022D0: 20343481
	v_lshlrev_b32_e32 v26, 3, v26                              // 0000000022D4: 24343483
	s_sub_i32 s25, s34, 0x80                                   // 0000000022D8: 8199FF22 00000080
	v_cmp_lt_u32_e64 s[32:33], v26, s25                        // 0000000022E0: D0C90020 0000331A
	s_mul_i32 s25, s8, 0                                       // 0000000022E8: 92198008
	s_lshl_b32 s25, s25, 2                                     // 0000000022EC: 8E198219
	v_add_u32_e32 v5, s25, v4                                  // 0000000022F0: 680A0819
	buffer_load_dwordx4 v[8:11], v5, s[12:15], 0 offen         // 0000000022F4: E05C1000 80030805
	v_add_u32_e32 v5, 0x100, v5                                // 0000000022FC: 680A0AFF 00000100
	s_waitcnt vmcnt(0) expcnt(0) lgkmcnt(0)                    // 000000002304: BF8C0000
	s_barrier                                                  // 000000002308: BF8A0000
	v_cvt_pk_bf16_f32 v20, v8, v9                              // 00000000230C: D2680014 00021308
	v_cvt_pk_bf16_f32 v21, v10, v11                            // 000000002314: D2680015 0002170A
	s_nop 1                                                    // 00000000231C: BF800001
	v_permlane16_swap_b32_e32 v20, v21                         // 000000002320: 7E28B315
	s_nop 1                                                    // 000000002324: BF800001
	s_mul_i32 s25, s11, 0                                      // 000000002328: 9219800B
	s_lshl_b32 s25, s25, 2                                     // 00000000232C: 8E198219
	s_lshl_b32 s26, 0, 7                                       // 000000002330: 8E1A8780
	v_add_u32_e32 v7, s25, v6                                  // 000000002334: 680E0C19
	v_add_u32_e32 v7, s26, v7                                  // 000000002338: 680E0E1A
	buffer_store_dword v20, v7, s[16:19], 0 offen              // 00000000233C: E0701000 80041407
	v_add_u32_e32 v7, s11, v7                                  // 000000002344: 680E0E0B
	buffer_store_dword v21, v7, s[16:19], 0 offen              // 000000002348: E0701000 80041507
	buffer_load_dwordx4 v[12:15], v5, s[12:15], 0 offen        // 000000002350: E05C1000 80030C05
	v_add_u32_e32 v5, 0x100, v5                                // 000000002358: 680A0AFF 00000100
	s_waitcnt vmcnt(0) expcnt(0) lgkmcnt(0)                    // 000000002360: BF8C0000
	s_barrier                                                  // 000000002364: BF8A0000
	v_cvt_pk_bf16_f32 v22, v12, v13                            // 000000002368: D2680016 00021B0C
	v_cvt_pk_bf16_f32 v23, v14, v15                            // 000000002370: D2680017 00021F0E
	s_nop 1                                                    // 000000002378: BF800001
	v_permlane16_swap_b32_e32 v22, v23                         // 00000000237C: 7E2CB317
	s_nop 1                                                    // 000000002380: BF800001
	s_mul_i32 s25, s11, 0                                      // 000000002384: 9219800B
	s_lshl_b32 s25, s25, 2                                     // 000000002388: 8E198219
	s_lshl_b32 s26, 1, 7                                       // 00000000238C: 8E1A8781
	v_add_u32_e32 v7, s25, v6                                  // 000000002390: 680E0C19
	v_add_u32_e32 v7, s26, v7                                  // 000000002394: 680E0E1A
	buffer_store_dword v22, v7, s[16:19], 0 offen              // 000000002398: E0701000 80041607
	v_add_u32_e32 v7, s11, v7                                  // 0000000023A0: 680E0E0B
	buffer_store_dword v23, v7, s[16:19], 0 offen              // 0000000023A4: E0701000 80041707
	v_mov_b32_e32 v16, 0                                       // 0000000023AC: 7E200280
	v_mov_b32_e32 v17, 0                                       // 0000000023B0: 7E220280
	v_mov_b32_e32 v18, 0                                       // 0000000023B4: 7E240280
	v_mov_b32_e32 v19, 0                                       // 0000000023B8: 7E260280
	s_mov_b64 exec, s[30:31]                                   // 0000000023BC: BEFE011E
	buffer_load_dwordx4 v[16:19], v5, s[12:15], 0 offen        // 0000000023C0: E05C1000 80031005
	s_mov_b64 exec, -1                                         // 0000000023C8: BEFE01C1
	v_add_u32_e32 v5, 0x100, v5                                // 0000000023CC: 680A0AFF 00000100
	s_waitcnt vmcnt(0) expcnt(0) lgkmcnt(0)                    // 0000000023D4: BF8C0000
	s_barrier                                                  // 0000000023D8: BF8A0000
	v_cvt_pk_bf16_f32 v24, v16, v17                            // 0000000023DC: D2680018 00022310
	v_cvt_pk_bf16_f32 v25, v18, v19                            // 0000000023E4: D2680019 00022712
	s_nop 1                                                    // 0000000023EC: BF800001
	v_permlane16_swap_b32_e32 v24, v25                         // 0000000023F0: 7E30B319
	s_nop 1                                                    // 0000000023F4: BF800001
	s_mul_i32 s25, s11, 0                                      // 0000000023F8: 9219800B
	s_lshl_b32 s25, s25, 2                                     // 0000000023FC: 8E198219
	s_lshl_b32 s26, 2, 7                                       // 000000002400: 8E1A8782
	v_add_u32_e32 v7, s25, v6                                  // 000000002404: 680E0C19
	v_add_u32_e32 v7, s26, v7                                  // 000000002408: 680E0E1A
	s_mov_b64 exec, s[32:33]                                   // 00000000240C: BEFE0120
	buffer_store_dword v24, v7, s[16:19], 0 offen              // 000000002410: E0701000 80041807
	v_add_u32_e32 v7, s11, v7                                  // 000000002418: 680E0E0B
	buffer_store_dword v25, v7, s[16:19], 0 offen              // 00000000241C: E0701000 80041907
	s_mov_b64 exec, -1                                         // 000000002424: BEFE01C1
	s_mul_i32 s25, s8, 1                                       // 000000002428: 92198108
	s_lshl_b32 s25, s25, 2                                     // 00000000242C: 8E198219
	v_add_u32_e32 v5, s25, v4                                  // 000000002430: 680A0819
	buffer_load_dwordx4 v[8:11], v5, s[12:15], 0 offen         // 000000002434: E05C1000 80030805
	v_add_u32_e32 v5, 0x100, v5                                // 00000000243C: 680A0AFF 00000100
	s_waitcnt vmcnt(0) expcnt(0) lgkmcnt(0)                    // 000000002444: BF8C0000
	s_barrier                                                  // 000000002448: BF8A0000
	v_cvt_pk_bf16_f32 v20, v8, v9                              // 00000000244C: D2680014 00021308
	v_cvt_pk_bf16_f32 v21, v10, v11                            // 000000002454: D2680015 0002170A
	s_nop 1                                                    // 00000000245C: BF800001
	v_permlane16_swap_b32_e32 v20, v21                         // 000000002460: 7E28B315
	s_nop 1                                                    // 000000002464: BF800001
	s_mul_i32 s25, s11, 1                                      // 000000002468: 9219810B
	s_lshl_b32 s25, s25, 2                                     // 00000000246C: 8E198219
	s_lshl_b32 s26, 0, 7                                       // 000000002470: 8E1A8780
	v_add_u32_e32 v7, s25, v6                                  // 000000002474: 680E0C19
	v_add_u32_e32 v7, s26, v7                                  // 000000002478: 680E0E1A
	buffer_store_dword v20, v7, s[16:19], 0 offen              // 00000000247C: E0701000 80041407
	v_add_u32_e32 v7, s11, v7                                  // 000000002484: 680E0E0B
	buffer_store_dword v21, v7, s[16:19], 0 offen              // 000000002488: E0701000 80041507
	buffer_load_dwordx4 v[12:15], v5, s[12:15], 0 offen        // 000000002490: E05C1000 80030C05
	v_add_u32_e32 v5, 0x100, v5                                // 000000002498: 680A0AFF 00000100
	s_waitcnt vmcnt(0) expcnt(0) lgkmcnt(0)                    // 0000000024A0: BF8C0000
	s_barrier                                                  // 0000000024A4: BF8A0000
	v_cvt_pk_bf16_f32 v22, v12, v13                            // 0000000024A8: D2680016 00021B0C
	v_cvt_pk_bf16_f32 v23, v14, v15                            // 0000000024B0: D2680017 00021F0E
	s_nop 1                                                    // 0000000024B8: BF800001
	v_permlane16_swap_b32_e32 v22, v23                         // 0000000024BC: 7E2CB317
	s_nop 1                                                    // 0000000024C0: BF800001
	s_mul_i32 s25, s11, 1                                      // 0000000024C4: 9219810B
	s_lshl_b32 s25, s25, 2                                     // 0000000024C8: 8E198219
	s_lshl_b32 s26, 1, 7                                       // 0000000024CC: 8E1A8781
	v_add_u32_e32 v7, s25, v6                                  // 0000000024D0: 680E0C19
	v_add_u32_e32 v7, s26, v7                                  // 0000000024D4: 680E0E1A
	buffer_store_dword v22, v7, s[16:19], 0 offen              // 0000000024D8: E0701000 80041607
	v_add_u32_e32 v7, s11, v7                                  // 0000000024E0: 680E0E0B
	buffer_store_dword v23, v7, s[16:19], 0 offen              // 0000000024E4: E0701000 80041707
	v_mov_b32_e32 v16, 0                                       // 0000000024EC: 7E200280
	v_mov_b32_e32 v17, 0                                       // 0000000024F0: 7E220280
	v_mov_b32_e32 v18, 0                                       // 0000000024F4: 7E240280
	v_mov_b32_e32 v19, 0                                       // 0000000024F8: 7E260280
	s_mov_b64 exec, s[30:31]                                   // 0000000024FC: BEFE011E
	buffer_load_dwordx4 v[16:19], v5, s[12:15], 0 offen        // 000000002500: E05C1000 80031005
	s_mov_b64 exec, -1                                         // 000000002508: BEFE01C1
	v_add_u32_e32 v5, 0x100, v5                                // 00000000250C: 680A0AFF 00000100
	s_waitcnt vmcnt(0) expcnt(0) lgkmcnt(0)                    // 000000002514: BF8C0000
	s_barrier                                                  // 000000002518: BF8A0000
	v_cvt_pk_bf16_f32 v24, v16, v17                            // 00000000251C: D2680018 00022310
	v_cvt_pk_bf16_f32 v25, v18, v19                            // 000000002524: D2680019 00022712
	s_nop 1                                                    // 00000000252C: BF800001
	v_permlane16_swap_b32_e32 v24, v25                         // 000000002530: 7E30B319
	s_nop 1                                                    // 000000002534: BF800001
	s_mul_i32 s25, s11, 1                                      // 000000002538: 9219810B
	s_lshl_b32 s25, s25, 2                                     // 00000000253C: 8E198219
	s_lshl_b32 s26, 2, 7                                       // 000000002540: 8E1A8782
	v_add_u32_e32 v7, s25, v6                                  // 000000002544: 680E0C19
	v_add_u32_e32 v7, s26, v7                                  // 000000002548: 680E0E1A
	s_mov_b64 exec, s[32:33]                                   // 00000000254C: BEFE0120
	buffer_store_dword v24, v7, s[16:19], 0 offen              // 000000002550: E0701000 80041807
	v_add_u32_e32 v7, s11, v7                                  // 000000002558: 680E0E0B
	buffer_store_dword v25, v7, s[16:19], 0 offen              // 00000000255C: E0701000 80041907
	s_mov_b64 exec, -1                                         // 000000002564: BEFE01C1
	s_mul_i32 s25, s8, 2                                       // 000000002568: 92198208
	s_lshl_b32 s25, s25, 2                                     // 00000000256C: 8E198219
	v_add_u32_e32 v5, s25, v4                                  // 000000002570: 680A0819
	buffer_load_dwordx4 v[8:11], v5, s[12:15], 0 offen         // 000000002574: E05C1000 80030805
	v_add_u32_e32 v5, 0x100, v5                                // 00000000257C: 680A0AFF 00000100
	s_waitcnt vmcnt(0) expcnt(0) lgkmcnt(0)                    // 000000002584: BF8C0000
	s_barrier                                                  // 000000002588: BF8A0000
	v_cvt_pk_bf16_f32 v20, v8, v9                              // 00000000258C: D2680014 00021308
	v_cvt_pk_bf16_f32 v21, v10, v11                            // 000000002594: D2680015 0002170A
	s_nop 1                                                    // 00000000259C: BF800001
	v_permlane16_swap_b32_e32 v20, v21                         // 0000000025A0: 7E28B315
	s_nop 1                                                    // 0000000025A4: BF800001
	s_mul_i32 s25, s11, 2                                      // 0000000025A8: 9219820B
	s_lshl_b32 s25, s25, 2                                     // 0000000025AC: 8E198219
	s_lshl_b32 s26, 0, 7                                       // 0000000025B0: 8E1A8780
	v_add_u32_e32 v7, s25, v6                                  // 0000000025B4: 680E0C19
	v_add_u32_e32 v7, s26, v7                                  // 0000000025B8: 680E0E1A
	buffer_store_dword v20, v7, s[16:19], 0 offen              // 0000000025BC: E0701000 80041407
	v_add_u32_e32 v7, s11, v7                                  // 0000000025C4: 680E0E0B
	buffer_store_dword v21, v7, s[16:19], 0 offen              // 0000000025C8: E0701000 80041507
	buffer_load_dwordx4 v[12:15], v5, s[12:15], 0 offen        // 0000000025D0: E05C1000 80030C05
	v_add_u32_e32 v5, 0x100, v5                                // 0000000025D8: 680A0AFF 00000100
	s_waitcnt vmcnt(0) expcnt(0) lgkmcnt(0)                    // 0000000025E0: BF8C0000
	s_barrier                                                  // 0000000025E4: BF8A0000
	v_cvt_pk_bf16_f32 v22, v12, v13                            // 0000000025E8: D2680016 00021B0C
	v_cvt_pk_bf16_f32 v23, v14, v15                            // 0000000025F0: D2680017 00021F0E
	s_nop 1                                                    // 0000000025F8: BF800001
	v_permlane16_swap_b32_e32 v22, v23                         // 0000000025FC: 7E2CB317
	s_nop 1                                                    // 000000002600: BF800001
	s_mul_i32 s25, s11, 2                                      // 000000002604: 9219820B
	s_lshl_b32 s25, s25, 2                                     // 000000002608: 8E198219
	s_lshl_b32 s26, 1, 7                                       // 00000000260C: 8E1A8781
	v_add_u32_e32 v7, s25, v6                                  // 000000002610: 680E0C19
	v_add_u32_e32 v7, s26, v7                                  // 000000002614: 680E0E1A
	buffer_store_dword v22, v7, s[16:19], 0 offen              // 000000002618: E0701000 80041607
	v_add_u32_e32 v7, s11, v7                                  // 000000002620: 680E0E0B
	buffer_store_dword v23, v7, s[16:19], 0 offen              // 000000002624: E0701000 80041707
	v_mov_b32_e32 v16, 0                                       // 00000000262C: 7E200280
	v_mov_b32_e32 v17, 0                                       // 000000002630: 7E220280
	v_mov_b32_e32 v18, 0                                       // 000000002634: 7E240280
	v_mov_b32_e32 v19, 0                                       // 000000002638: 7E260280
	s_mov_b64 exec, s[30:31]                                   // 00000000263C: BEFE011E
	buffer_load_dwordx4 v[16:19], v5, s[12:15], 0 offen        // 000000002640: E05C1000 80031005
	s_mov_b64 exec, -1                                         // 000000002648: BEFE01C1
	v_add_u32_e32 v5, 0x100, v5                                // 00000000264C: 680A0AFF 00000100
	s_waitcnt vmcnt(0) expcnt(0) lgkmcnt(0)                    // 000000002654: BF8C0000
	s_barrier                                                  // 000000002658: BF8A0000
	v_cvt_pk_bf16_f32 v24, v16, v17                            // 00000000265C: D2680018 00022310
	v_cvt_pk_bf16_f32 v25, v18, v19                            // 000000002664: D2680019 00022712
	s_nop 1                                                    // 00000000266C: BF800001
	v_permlane16_swap_b32_e32 v24, v25                         // 000000002670: 7E30B319
	s_nop 1                                                    // 000000002674: BF800001
	s_mul_i32 s25, s11, 2                                      // 000000002678: 9219820B
	s_lshl_b32 s25, s25, 2                                     // 00000000267C: 8E198219
	s_lshl_b32 s26, 2, 7                                       // 000000002680: 8E1A8782
	v_add_u32_e32 v7, s25, v6                                  // 000000002684: 680E0C19
	v_add_u32_e32 v7, s26, v7                                  // 000000002688: 680E0E1A
	s_mov_b64 exec, s[32:33]                                   // 00000000268C: BEFE0120
	buffer_store_dword v24, v7, s[16:19], 0 offen              // 000000002690: E0701000 80041807
	v_add_u32_e32 v7, s11, v7                                  // 000000002698: 680E0E0B
	buffer_store_dword v25, v7, s[16:19], 0 offen              // 00000000269C: E0701000 80041907
	s_mov_b64 exec, -1                                         // 0000000026A4: BEFE01C1
	s_mul_i32 s25, s8, 3                                       // 0000000026A8: 92198308
	s_lshl_b32 s25, s25, 2                                     // 0000000026AC: 8E198219
	v_add_u32_e32 v5, s25, v4                                  // 0000000026B0: 680A0819
	buffer_load_dwordx4 v[8:11], v5, s[12:15], 0 offen         // 0000000026B4: E05C1000 80030805
	v_add_u32_e32 v5, 0x100, v5                                // 0000000026BC: 680A0AFF 00000100
	s_waitcnt vmcnt(0) expcnt(0) lgkmcnt(0)                    // 0000000026C4: BF8C0000
	s_barrier                                                  // 0000000026C8: BF8A0000
	v_cvt_pk_bf16_f32 v20, v8, v9                              // 0000000026CC: D2680014 00021308
	v_cvt_pk_bf16_f32 v21, v10, v11                            // 0000000026D4: D2680015 0002170A
	s_nop 1                                                    // 0000000026DC: BF800001
	v_permlane16_swap_b32_e32 v20, v21                         // 0000000026E0: 7E28B315
	s_nop 1                                                    // 0000000026E4: BF800001
	s_mul_i32 s25, s11, 3                                      // 0000000026E8: 9219830B
	s_lshl_b32 s25, s25, 2                                     // 0000000026EC: 8E198219
	s_lshl_b32 s26, 0, 7                                       // 0000000026F0: 8E1A8780
	v_add_u32_e32 v7, s25, v6                                  // 0000000026F4: 680E0C19
	v_add_u32_e32 v7, s26, v7                                  // 0000000026F8: 680E0E1A
	buffer_store_dword v20, v7, s[16:19], 0 offen              // 0000000026FC: E0701000 80041407
	v_add_u32_e32 v7, s11, v7                                  // 000000002704: 680E0E0B
	buffer_store_dword v21, v7, s[16:19], 0 offen              // 000000002708: E0701000 80041507
	buffer_load_dwordx4 v[12:15], v5, s[12:15], 0 offen        // 000000002710: E05C1000 80030C05
	v_add_u32_e32 v5, 0x100, v5                                // 000000002718: 680A0AFF 00000100
	s_waitcnt vmcnt(0) expcnt(0) lgkmcnt(0)                    // 000000002720: BF8C0000
	s_barrier                                                  // 000000002724: BF8A0000
	v_cvt_pk_bf16_f32 v22, v12, v13                            // 000000002728: D2680016 00021B0C
	v_cvt_pk_bf16_f32 v23, v14, v15                            // 000000002730: D2680017 00021F0E
	s_nop 1                                                    // 000000002738: BF800001
	v_permlane16_swap_b32_e32 v22, v23                         // 00000000273C: 7E2CB317
	s_nop 1                                                    // 000000002740: BF800001
	s_mul_i32 s25, s11, 3                                      // 000000002744: 9219830B
	s_lshl_b32 s25, s25, 2                                     // 000000002748: 8E198219
	s_lshl_b32 s26, 1, 7                                       // 00000000274C: 8E1A8781
	v_add_u32_e32 v7, s25, v6                                  // 000000002750: 680E0C19
	v_add_u32_e32 v7, s26, v7                                  // 000000002754: 680E0E1A
	buffer_store_dword v22, v7, s[16:19], 0 offen              // 000000002758: E0701000 80041607
	v_add_u32_e32 v7, s11, v7                                  // 000000002760: 680E0E0B
	buffer_store_dword v23, v7, s[16:19], 0 offen              // 000000002764: E0701000 80041707
	v_mov_b32_e32 v16, 0                                       // 00000000276C: 7E200280
	v_mov_b32_e32 v17, 0                                       // 000000002770: 7E220280
	v_mov_b32_e32 v18, 0                                       // 000000002774: 7E240280
	v_mov_b32_e32 v19, 0                                       // 000000002778: 7E260280
	s_mov_b64 exec, s[30:31]                                   // 00000000277C: BEFE011E
	buffer_load_dwordx4 v[16:19], v5, s[12:15], 0 offen        // 000000002780: E05C1000 80031005
	s_mov_b64 exec, -1                                         // 000000002788: BEFE01C1
	v_add_u32_e32 v5, 0x100, v5                                // 00000000278C: 680A0AFF 00000100
	s_waitcnt vmcnt(0) expcnt(0) lgkmcnt(0)                    // 000000002794: BF8C0000
	s_barrier                                                  // 000000002798: BF8A0000
	v_cvt_pk_bf16_f32 v24, v16, v17                            // 00000000279C: D2680018 00022310
	v_cvt_pk_bf16_f32 v25, v18, v19                            // 0000000027A4: D2680019 00022712
	s_nop 1                                                    // 0000000027AC: BF800001
	v_permlane16_swap_b32_e32 v24, v25                         // 0000000027B0: 7E30B319
	s_nop 1                                                    // 0000000027B4: BF800001
	s_mul_i32 s25, s11, 3                                      // 0000000027B8: 9219830B
	s_lshl_b32 s25, s25, 2                                     // 0000000027BC: 8E198219
	s_lshl_b32 s26, 2, 7                                       // 0000000027C0: 8E1A8782
	v_add_u32_e32 v7, s25, v6                                  // 0000000027C4: 680E0C19
	v_add_u32_e32 v7, s26, v7                                  // 0000000027C8: 680E0E1A
	s_mov_b64 exec, s[32:33]                                   // 0000000027CC: BEFE0120
	buffer_store_dword v24, v7, s[16:19], 0 offen              // 0000000027D0: E0701000 80041807
	v_add_u32_e32 v7, s11, v7                                  // 0000000027D8: 680E0E0B
	buffer_store_dword v25, v7, s[16:19], 0 offen              // 0000000027DC: E0701000 80041907
	s_mov_b64 exec, -1                                         // 0000000027E4: BEFE01C1
	s_waitcnt vmcnt(0) expcnt(0) lgkmcnt(0)                    // 0000000027E8: BF8C0000
	s_endpgm                                                   // 0000000027EC: BF810000
